;; amdgpu-corpus repo=ROCm/rocFFT kind=compiled arch=gfx906 opt=O3
	.text
	.amdgcn_target "amdgcn-amd-amdhsa--gfx906"
	.amdhsa_code_object_version 6
	.protected	fft_rtc_fwd_len88_factors_11_8_wgs_121_tpt_11_halfLds_sp_op_CI_CI_unitstride_sbrr_C2R_dirReg ; -- Begin function fft_rtc_fwd_len88_factors_11_8_wgs_121_tpt_11_halfLds_sp_op_CI_CI_unitstride_sbrr_C2R_dirReg
	.globl	fft_rtc_fwd_len88_factors_11_8_wgs_121_tpt_11_halfLds_sp_op_CI_CI_unitstride_sbrr_C2R_dirReg
	.p2align	8
	.type	fft_rtc_fwd_len88_factors_11_8_wgs_121_tpt_11_halfLds_sp_op_CI_CI_unitstride_sbrr_C2R_dirReg,@function
fft_rtc_fwd_len88_factors_11_8_wgs_121_tpt_11_halfLds_sp_op_CI_CI_unitstride_sbrr_C2R_dirReg: ; @fft_rtc_fwd_len88_factors_11_8_wgs_121_tpt_11_halfLds_sp_op_CI_CI_unitstride_sbrr_C2R_dirReg
; %bb.0:
	s_load_dwordx4 s[8:11], s[4:5], 0x58
	s_load_dwordx4 s[12:15], s[4:5], 0x0
	;; [unrolled: 1-line block ×3, first 2 shown]
	v_mul_u32_u24_e32 v1, 0x1746, v0
	v_lshrrev_b32_e32 v1, 16, v1
	v_mad_u64_u32 v[3:4], s[0:1], s6, 11, v[1:2]
	v_mov_b32_e32 v5, 0
	v_mov_b32_e32 v1, 0
	;; [unrolled: 1-line block ×3, first 2 shown]
	s_waitcnt lgkmcnt(0)
	v_cmp_lt_u64_e64 s[0:1], s[14:15], 2
	v_mov_b32_e32 v2, 0
	v_mov_b32_e32 v21, v2
	;; [unrolled: 1-line block ×3, first 2 shown]
	s_and_b64 vcc, exec, s[0:1]
	v_mov_b32_e32 v20, v1
	v_mov_b32_e32 v22, v3
	s_cbranch_vccnz .LBB0_8
; %bb.1:
	s_load_dwordx2 s[0:1], s[4:5], 0x10
	s_add_u32 s2, s18, 8
	s_addc_u32 s3, s19, 0
	s_add_u32 s6, s16, 8
	v_mov_b32_e32 v1, 0
	s_addc_u32 s7, s17, 0
	v_mov_b32_e32 v2, 0
	s_waitcnt lgkmcnt(0)
	s_add_u32 s20, s0, 8
	v_mov_b32_e32 v21, v2
	v_mov_b32_e32 v8, v4
	s_addc_u32 s21, s1, 0
	s_mov_b64 s[22:23], 1
	v_mov_b32_e32 v20, v1
	v_mov_b32_e32 v7, v3
.LBB0_2:                                ; =>This Inner Loop Header: Depth=1
	s_load_dwordx2 s[24:25], s[20:21], 0x0
                                        ; implicit-def: $vgpr22_vgpr23
	s_waitcnt lgkmcnt(0)
	v_or_b32_e32 v6, s25, v8
	v_cmp_ne_u64_e32 vcc, 0, v[5:6]
	s_and_saveexec_b64 s[0:1], vcc
	s_xor_b64 s[26:27], exec, s[0:1]
	s_cbranch_execz .LBB0_4
; %bb.3:                                ;   in Loop: Header=BB0_2 Depth=1
	v_cvt_f32_u32_e32 v4, s24
	v_cvt_f32_u32_e32 v6, s25
	s_sub_u32 s0, 0, s24
	s_subb_u32 s1, 0, s25
	v_mac_f32_e32 v4, 0x4f800000, v6
	v_rcp_f32_e32 v4, v4
	v_mul_f32_e32 v4, 0x5f7ffffc, v4
	v_mul_f32_e32 v6, 0x2f800000, v4
	v_trunc_f32_e32 v6, v6
	v_mac_f32_e32 v4, 0xcf800000, v6
	v_cvt_u32_f32_e32 v6, v6
	v_cvt_u32_f32_e32 v4, v4
	v_mul_lo_u32 v9, s0, v6
	v_mul_hi_u32 v10, s0, v4
	v_mul_lo_u32 v12, s1, v4
	v_mul_lo_u32 v11, s0, v4
	v_add_u32_e32 v9, v10, v9
	v_add_u32_e32 v9, v9, v12
	v_mul_hi_u32 v10, v4, v11
	v_mul_lo_u32 v12, v4, v9
	v_mul_hi_u32 v14, v4, v9
	v_mul_hi_u32 v13, v6, v11
	v_mul_lo_u32 v11, v6, v11
	v_mul_hi_u32 v15, v6, v9
	v_add_co_u32_e32 v10, vcc, v10, v12
	v_addc_co_u32_e32 v12, vcc, 0, v14, vcc
	v_mul_lo_u32 v9, v6, v9
	v_add_co_u32_e32 v10, vcc, v10, v11
	v_addc_co_u32_e32 v10, vcc, v12, v13, vcc
	v_addc_co_u32_e32 v11, vcc, 0, v15, vcc
	v_add_co_u32_e32 v9, vcc, v10, v9
	v_addc_co_u32_e32 v10, vcc, 0, v11, vcc
	v_add_co_u32_e32 v4, vcc, v4, v9
	v_addc_co_u32_e32 v6, vcc, v6, v10, vcc
	v_mul_lo_u32 v9, s0, v6
	v_mul_hi_u32 v10, s0, v4
	v_mul_lo_u32 v11, s1, v4
	v_mul_lo_u32 v12, s0, v4
	v_add_u32_e32 v9, v10, v9
	v_add_u32_e32 v9, v9, v11
	v_mul_lo_u32 v13, v4, v9
	v_mul_hi_u32 v14, v4, v12
	v_mul_hi_u32 v15, v4, v9
	;; [unrolled: 1-line block ×3, first 2 shown]
	v_mul_lo_u32 v12, v6, v12
	v_mul_hi_u32 v10, v6, v9
	v_add_co_u32_e32 v13, vcc, v14, v13
	v_addc_co_u32_e32 v14, vcc, 0, v15, vcc
	v_mul_lo_u32 v9, v6, v9
	v_add_co_u32_e32 v12, vcc, v13, v12
	v_addc_co_u32_e32 v11, vcc, v14, v11, vcc
	v_addc_co_u32_e32 v10, vcc, 0, v10, vcc
	v_add_co_u32_e32 v9, vcc, v11, v9
	v_addc_co_u32_e32 v10, vcc, 0, v10, vcc
	v_add_co_u32_e32 v4, vcc, v4, v9
	v_addc_co_u32_e32 v6, vcc, v6, v10, vcc
	v_mad_u64_u32 v[9:10], s[0:1], v7, v6, 0
	v_mul_hi_u32 v11, v7, v4
	v_add_co_u32_e32 v13, vcc, v11, v9
	v_addc_co_u32_e32 v14, vcc, 0, v10, vcc
	v_mad_u64_u32 v[9:10], s[0:1], v8, v4, 0
	v_mad_u64_u32 v[11:12], s[0:1], v8, v6, 0
	v_add_co_u32_e32 v4, vcc, v13, v9
	v_addc_co_u32_e32 v4, vcc, v14, v10, vcc
	v_addc_co_u32_e32 v6, vcc, 0, v12, vcc
	v_add_co_u32_e32 v4, vcc, v4, v11
	v_addc_co_u32_e32 v6, vcc, 0, v6, vcc
	v_mul_lo_u32 v11, s25, v4
	v_mul_lo_u32 v12, s24, v6
	v_mad_u64_u32 v[9:10], s[0:1], s24, v4, 0
	v_add3_u32 v10, v10, v12, v11
	v_sub_u32_e32 v11, v8, v10
	v_mov_b32_e32 v12, s25
	v_sub_co_u32_e32 v9, vcc, v7, v9
	v_subb_co_u32_e64 v11, s[0:1], v11, v12, vcc
	v_subrev_co_u32_e64 v12, s[0:1], s24, v9
	v_subbrev_co_u32_e64 v11, s[0:1], 0, v11, s[0:1]
	v_cmp_le_u32_e64 s[0:1], s25, v11
	v_cndmask_b32_e64 v13, 0, -1, s[0:1]
	v_cmp_le_u32_e64 s[0:1], s24, v12
	v_cndmask_b32_e64 v12, 0, -1, s[0:1]
	v_cmp_eq_u32_e64 s[0:1], s25, v11
	v_cndmask_b32_e64 v11, v13, v12, s[0:1]
	v_add_co_u32_e64 v12, s[0:1], 2, v4
	v_addc_co_u32_e64 v13, s[0:1], 0, v6, s[0:1]
	v_add_co_u32_e64 v14, s[0:1], 1, v4
	v_addc_co_u32_e64 v15, s[0:1], 0, v6, s[0:1]
	v_subb_co_u32_e32 v10, vcc, v8, v10, vcc
	v_cmp_ne_u32_e64 s[0:1], 0, v11
	v_cmp_le_u32_e32 vcc, s25, v10
	v_cndmask_b32_e64 v11, v15, v13, s[0:1]
	v_cndmask_b32_e64 v13, 0, -1, vcc
	v_cmp_le_u32_e32 vcc, s24, v9
	v_cndmask_b32_e64 v9, 0, -1, vcc
	v_cmp_eq_u32_e32 vcc, s25, v10
	v_cndmask_b32_e32 v9, v13, v9, vcc
	v_cmp_ne_u32_e32 vcc, 0, v9
	v_cndmask_b32_e32 v23, v6, v11, vcc
	v_cndmask_b32_e64 v6, v14, v12, s[0:1]
	v_cndmask_b32_e32 v22, v4, v6, vcc
.LBB0_4:                                ;   in Loop: Header=BB0_2 Depth=1
	s_andn2_saveexec_b64 s[0:1], s[26:27]
	s_cbranch_execz .LBB0_6
; %bb.5:                                ;   in Loop: Header=BB0_2 Depth=1
	v_cvt_f32_u32_e32 v4, s24
	s_sub_i32 s26, 0, s24
	v_mov_b32_e32 v23, v5
	v_rcp_iflag_f32_e32 v4, v4
	v_mul_f32_e32 v4, 0x4f7ffffe, v4
	v_cvt_u32_f32_e32 v4, v4
	v_mul_lo_u32 v6, s26, v4
	v_mul_hi_u32 v6, v4, v6
	v_add_u32_e32 v4, v4, v6
	v_mul_hi_u32 v4, v7, v4
	v_mul_lo_u32 v6, v4, s24
	v_add_u32_e32 v9, 1, v4
	v_sub_u32_e32 v6, v7, v6
	v_subrev_u32_e32 v10, s24, v6
	v_cmp_le_u32_e32 vcc, s24, v6
	v_cndmask_b32_e32 v6, v6, v10, vcc
	v_cndmask_b32_e32 v4, v4, v9, vcc
	v_add_u32_e32 v9, 1, v4
	v_cmp_le_u32_e32 vcc, s24, v6
	v_cndmask_b32_e32 v22, v4, v9, vcc
.LBB0_6:                                ;   in Loop: Header=BB0_2 Depth=1
	s_or_b64 exec, exec, s[0:1]
	v_mul_lo_u32 v4, v23, s24
	v_mul_lo_u32 v6, v22, s25
	v_mad_u64_u32 v[9:10], s[0:1], v22, s24, 0
	s_load_dwordx2 s[0:1], s[6:7], 0x0
	s_load_dwordx2 s[24:25], s[2:3], 0x0
	v_add3_u32 v4, v10, v6, v4
	v_sub_co_u32_e32 v6, vcc, v7, v9
	v_subb_co_u32_e32 v4, vcc, v8, v4, vcc
	s_waitcnt lgkmcnt(0)
	v_mul_lo_u32 v7, s0, v4
	v_mul_lo_u32 v8, s1, v6
	v_mad_u64_u32 v[1:2], s[0:1], s0, v6, v[1:2]
	s_add_u32 s22, s22, 1
	s_addc_u32 s23, s23, 0
	s_add_u32 s2, s2, 8
	v_mul_lo_u32 v4, s24, v4
	v_mul_lo_u32 v9, s25, v6
	v_mad_u64_u32 v[20:21], s[0:1], s24, v6, v[20:21]
	v_add3_u32 v2, v8, v2, v7
	s_addc_u32 s3, s3, 0
	v_mov_b32_e32 v6, s14
	s_add_u32 s6, s6, 8
	v_mov_b32_e32 v7, s15
	s_addc_u32 s7, s7, 0
	v_cmp_ge_u64_e32 vcc, s[22:23], v[6:7]
	s_add_u32 s20, s20, 8
	v_add3_u32 v21, v9, v21, v4
	s_addc_u32 s21, s21, 0
	s_cbranch_vccnz .LBB0_8
; %bb.7:                                ;   in Loop: Header=BB0_2 Depth=1
	v_mov_b32_e32 v7, v22
	v_mov_b32_e32 v8, v23
	s_branch .LBB0_2
.LBB0_8:
	s_mov_b32 s0, 0xba2e8ba3
	v_mul_hi_u32 v4, v3, s0
	s_load_dwordx2 s[0:1], s[4:5], 0x28
	s_lshl_b64 s[6:7], s[14:15], 3
	s_add_u32 s2, s18, s6
	v_lshrrev_b32_e32 v4, 3, v4
	v_mul_lo_u32 v4, v4, 11
	s_waitcnt lgkmcnt(0)
	v_cmp_gt_u64_e32 vcc, s[0:1], v[22:23]
	v_cmp_le_u64_e64 s[0:1], s[0:1], v[22:23]
	s_addc_u32 s3, s19, s7
	v_sub_u32_e32 v3, v3, v4
                                        ; implicit-def: $vgpr24
	s_and_saveexec_b64 s[4:5], s[0:1]
	s_xor_b64 s[0:1], exec, s[4:5]
; %bb.9:
	s_mov_b32 s4, 0x1745d175
	v_mul_hi_u32 v1, v0, s4
	v_mul_u32_u24_e32 v1, 11, v1
	v_sub_u32_e32 v24, v0, v1
                                        ; implicit-def: $vgpr0
                                        ; implicit-def: $vgpr1_vgpr2
; %bb.10:
	s_or_saveexec_b64 s[4:5], s[0:1]
	s_load_dwordx2 s[2:3], s[2:3], 0x0
	v_mul_u32_u24_e32 v4, 0x59, v3
	v_lshlrev_b32_e32 v28, 3, v4
	s_xor_b64 exec, exec, s[4:5]
	s_cbranch_execz .LBB0_14
; %bb.11:
	s_add_u32 s0, s16, s6
	s_addc_u32 s1, s17, s7
	s_load_dwordx2 s[0:1], s[0:1], 0x0
	s_mov_b32 s6, 0x1745d175
	v_mul_hi_u32 v3, v0, s6
	s_waitcnt lgkmcnt(0)
	v_mul_lo_u32 v7, s1, v22
	v_mul_lo_u32 v8, s0, v23
	v_mad_u64_u32 v[5:6], s[0:1], s0, v22, 0
	v_mul_u32_u24_e32 v3, 11, v3
	v_sub_u32_e32 v24, v0, v3
	v_add3_u32 v6, v6, v8, v7
	v_lshlrev_b64 v[5:6], 3, v[5:6]
	v_mov_b32_e32 v0, s9
	v_add_co_u32_e64 v3, s[0:1], s8, v5
	v_addc_co_u32_e64 v5, s[0:1], v0, v6, s[0:1]
	v_lshlrev_b64 v[0:1], 3, v[1:2]
	v_lshlrev_b32_e32 v19, 3, v24
	v_add_co_u32_e64 v0, s[0:1], v3, v0
	v_addc_co_u32_e64 v1, s[0:1], v5, v1, s[0:1]
	v_add_co_u32_e64 v2, s[0:1], v0, v19
	v_addc_co_u32_e64 v3, s[0:1], 0, v1, s[0:1]
	global_load_dwordx2 v[5:6], v[2:3], off
	global_load_dwordx2 v[7:8], v[2:3], off offset:88
	global_load_dwordx2 v[9:10], v[2:3], off offset:176
	;; [unrolled: 1-line block ×7, first 2 shown]
	v_add3_u32 v2, 0, v28, v19
	v_cmp_eq_u32_e64 s[0:1], 10, v24
	s_waitcnt vmcnt(6)
	ds_write2_b64 v2, v[5:6], v[7:8] offset1:11
	s_waitcnt vmcnt(4)
	ds_write2_b64 v2, v[9:10], v[11:12] offset0:22 offset1:33
	s_waitcnt vmcnt(2)
	ds_write2_b64 v2, v[13:14], v[15:16] offset0:44 offset1:55
	;; [unrolled: 2-line block ×3, first 2 shown]
	s_and_saveexec_b64 s[6:7], s[0:1]
	s_cbranch_execz .LBB0_13
; %bb.12:
	global_load_dwordx2 v[0:1], v[0:1], off offset:704
	v_mov_b32_e32 v24, 10
	s_waitcnt vmcnt(0)
	ds_write_b64 v2, v[0:1] offset:624
.LBB0_13:
	s_or_b64 exec, exec, s[6:7]
.LBB0_14:
	s_or_b64 exec, exec, s[4:5]
	v_lshl_add_u32 v27, v4, 3, 0
	v_lshlrev_b32_e32 v0, 3, v24
	v_add_u32_e32 v29, v27, v0
	s_waitcnt lgkmcnt(0)
	s_barrier
	v_sub_u32_e32 v5, v27, v0
	ds_read_b32 v6, v29
	ds_read_b32 v7, v5 offset:704
	v_cmp_ne_u32_e64 s[0:1], 0, v24
                                        ; implicit-def: $vgpr2_vgpr3
	s_waitcnt lgkmcnt(0)
	v_add_f32_e32 v0, v7, v6
	v_sub_f32_e32 v1, v6, v7
	s_and_saveexec_b64 s[4:5], s[0:1]
	s_xor_b64 s[4:5], exec, s[4:5]
	s_cbranch_execz .LBB0_16
; %bb.15:
	v_mov_b32_e32 v25, 0
	v_lshlrev_b64 v[0:1], 3, v[24:25]
	v_mov_b32_e32 v2, s13
	v_add_co_u32_e64 v0, s[0:1], s12, v0
	v_addc_co_u32_e64 v1, s[0:1], v2, v1, s[0:1]
	global_load_dwordx2 v[2:3], v[0:1], off offset:616
	ds_read_b32 v0, v5 offset:708
	ds_read_b32 v1, v29 offset:4
	v_add_f32_e32 v8, v7, v6
	v_sub_f32_e32 v9, v6, v7
	s_waitcnt lgkmcnt(0)
	v_add_f32_e32 v10, v0, v1
	v_sub_f32_e32 v0, v1, v0
	s_waitcnt vmcnt(0)
	v_fma_f32 v11, v9, v3, v8
	v_fma_f32 v1, v10, v3, v0
	v_fma_f32 v6, -v9, v3, v8
	v_fma_f32 v7, v10, v3, -v0
	v_fma_f32 v0, -v2, v10, v11
	v_fmac_f32_e32 v1, v9, v2
	v_fmac_f32_e32 v6, v2, v10
	;; [unrolled: 1-line block ×3, first 2 shown]
	v_mov_b32_e32 v2, v24
	ds_write_b64 v5, v[6:7] offset:704
	v_mov_b32_e32 v3, v25
.LBB0_16:
	s_andn2_saveexec_b64 s[0:1], s[4:5]
	s_cbranch_execz .LBB0_18
; %bb.17:
	ds_read_b64 v[2:3], v27 offset:352
	s_waitcnt lgkmcnt(0)
	v_add_f32_e32 v6, v2, v2
	v_mul_f32_e32 v7, -2.0, v3
	v_mov_b32_e32 v2, 0
	v_mov_b32_e32 v3, 0
	ds_write_b64 v27, v[6:7] offset:352
.LBB0_18:
	s_or_b64 exec, exec, s[0:1]
	s_add_u32 s0, s12, 0x268
	v_lshlrev_b64 v[2:3], 3, v[2:3]
	s_addc_u32 s1, s13, 0
	v_mov_b32_e32 v6, s1
	v_add_co_u32_e64 v2, s[0:1], s0, v2
	v_addc_co_u32_e64 v3, s[0:1], v6, v3, s[0:1]
	global_load_dwordx2 v[6:7], v[2:3], off offset:88
	global_load_dwordx2 v[8:9], v[2:3], off offset:176
	;; [unrolled: 1-line block ×3, first 2 shown]
	ds_write_b64 v29, v[0:1]
	ds_read_b64 v[0:1], v29 offset:88
	ds_read_b64 v[2:3], v5 offset:616
	v_lshl_add_u32 v31, v24, 3, 0
	v_lshl_add_u32 v30, v4, 3, v31
	v_cmp_gt_u32_e64 s[0:1], 8, v24
	s_waitcnt lgkmcnt(0)
	v_add_f32_e32 v12, v0, v2
	v_add_f32_e32 v13, v3, v1
	v_sub_f32_e32 v14, v0, v2
	v_sub_f32_e32 v0, v1, v3
	s_waitcnt vmcnt(2)
	v_fma_f32 v15, v14, v7, v12
	v_fma_f32 v1, v13, v7, v0
	v_fma_f32 v2, -v14, v7, v12
	v_fma_f32 v3, v13, v7, -v0
	v_fma_f32 v0, -v6, v13, v15
	v_fmac_f32_e32 v1, v14, v6
	v_fmac_f32_e32 v2, v6, v13
	;; [unrolled: 1-line block ×3, first 2 shown]
	ds_write_b64 v29, v[0:1] offset:88
	ds_write_b64 v5, v[2:3] offset:616
	ds_read_b64 v[0:1], v29 offset:176
	ds_read_b64 v[2:3], v5 offset:528
	s_waitcnt lgkmcnt(0)
	v_add_f32_e32 v6, v0, v2
	v_add_f32_e32 v7, v3, v1
	v_sub_f32_e32 v12, v0, v2
	v_sub_f32_e32 v0, v1, v3
	s_waitcnt vmcnt(1)
	v_fma_f32 v13, v12, v9, v6
	v_fma_f32 v1, v7, v9, v0
	v_fma_f32 v2, -v12, v9, v6
	v_fma_f32 v3, v7, v9, -v0
	v_fma_f32 v0, -v8, v7, v13
	v_fmac_f32_e32 v1, v12, v8
	v_fmac_f32_e32 v2, v8, v7
	v_fmac_f32_e32 v3, v12, v8
	ds_write_b64 v29, v[0:1] offset:176
	ds_write_b64 v5, v[2:3] offset:528
	ds_read_b64 v[0:1], v29 offset:264
	ds_read_b64 v[2:3], v5 offset:440
	s_waitcnt lgkmcnt(0)
	v_add_f32_e32 v4, v0, v2
	v_add_f32_e32 v6, v3, v1
	v_sub_f32_e32 v7, v0, v2
	v_sub_f32_e32 v0, v1, v3
	s_waitcnt vmcnt(0)
	v_fma_f32 v8, v7, v11, v4
	v_fma_f32 v1, v6, v11, v0
	v_fma_f32 v2, -v7, v11, v4
	v_fma_f32 v3, v6, v11, -v0
	v_fma_f32 v0, -v10, v6, v8
	v_fmac_f32_e32 v1, v7, v10
	v_fmac_f32_e32 v2, v10, v6
	;; [unrolled: 1-line block ×3, first 2 shown]
	ds_write_b64 v29, v[0:1] offset:264
	ds_write_b64 v5, v[2:3] offset:440
	s_waitcnt lgkmcnt(0)
	s_barrier
	s_barrier
	ds_read_b64 v[25:26], v29
	ds_read2_b64 v[4:7], v30 offset0:8 offset1:16
	ds_read2_b64 v[16:19], v30 offset0:24 offset1:32
	;; [unrolled: 1-line block ×5, first 2 shown]
	s_waitcnt lgkmcnt(0)
	s_barrier
	s_and_saveexec_b64 s[4:5], s[0:1]
	s_cbranch_execz .LBB0_20
; %bb.19:
	v_add_f32_e32 v32, v26, v5
	v_add_f32_e32 v32, v32, v7
	;; [unrolled: 1-line block ×8, first 2 shown]
	v_sub_f32_e32 v37, v18, v12
	v_add_f32_e32 v39, v12, v18
	v_add_f32_e32 v18, v32, v1
	;; [unrolled: 1-line block ×4, first 2 shown]
	v_sub_f32_e32 v35, v16, v14
	v_add_f32_e32 v36, v13, v19
	v_add_f32_e32 v38, v14, v16
	v_sub_f32_e32 v16, v17, v15
	v_sub_f32_e32 v17, v19, v13
	v_add_f32_e32 v13, v18, v13
	v_add_f32_e32 v13, v13, v15
	;; [unrolled: 1-line block ×8, first 2 shown]
	v_sub_f32_e32 v15, v6, v8
	v_add_f32_e32 v41, v8, v6
	v_add_f32_e32 v6, v12, v8
	v_sub_f32_e32 v12, v0, v2
	v_add_f32_e32 v43, v2, v0
	v_mul_f32_e32 v2, 0xbf75a155, v32
	v_sub_f32_e32 v14, v4, v10
	v_add_f32_e32 v42, v3, v1
	v_sub_f32_e32 v44, v1, v3
	v_mov_b32_e32 v0, v2
	v_mul_f32_e32 v3, 0x3f575c64, v33
	v_add_f32_e32 v40, v10, v4
	v_add_f32_e32 v4, v13, v9
	v_fmac_f32_e32 v0, 0x3e903f40, v14
	v_mov_b32_e32 v1, v3
	v_sub_f32_e32 v18, v5, v11
	v_add_f32_e32 v5, v4, v11
	v_add_f32_e32 v4, v6, v10
	;; [unrolled: 1-line block ×3, first 2 shown]
	v_fmac_f32_e32 v1, 0xbf0a6770, v15
	v_mul_f32_e32 v6, 0xbf27a4f4, v34
	v_add_f32_e32 v0, v1, v0
	v_mov_b32_e32 v1, v6
	v_sub_f32_e32 v19, v7, v9
	v_fmac_f32_e32 v1, 0x3f4178ce, v35
	v_mul_f32_e32 v7, 0x3ed4b147, v36
	v_add_f32_e32 v0, v1, v0
	v_mov_b32_e32 v1, v7
	v_fmac_f32_e32 v1, 0xbf68dda4, v37
	v_mul_f32_e32 v8, 0xbe903f40, v18
	v_add_f32_e32 v0, v1, v0
	v_mov_b32_e32 v1, v8
	v_mul_f32_e32 v9, 0x3f0a6770, v19
	v_fmac_f32_e32 v1, 0xbf75a155, v40
	v_mov_b32_e32 v10, v9
	v_add_f32_e32 v1, v25, v1
	v_fmac_f32_e32 v10, 0x3f575c64, v41
	v_add_f32_e32 v1, v10, v1
	v_mul_f32_e32 v10, 0xbf4178ce, v16
	v_mov_b32_e32 v11, v10
	v_fmac_f32_e32 v2, 0xbe903f40, v14
	v_fmac_f32_e32 v11, 0xbf27a4f4, v38
	v_add_f32_e32 v2, v26, v2
	v_fmac_f32_e32 v3, 0x3f0a6770, v15
	s_mov_b32 s0, 0xbf75a155
	v_add_f32_e32 v1, v11, v1
	v_mul_f32_e32 v11, 0x3f68dda4, v17
	v_add_f32_e32 v2, v3, v2
	v_fmac_f32_e32 v6, 0xbf4178ce, v35
	s_mov_b32 s8, 0x3f575c64
	v_fma_f32 v3, v40, s0, -v8
	v_mov_b32_e32 v13, v11
	v_add_f32_e32 v2, v6, v2
	v_add_f32_e32 v3, v25, v3
	v_fma_f32 v6, v41, s8, -v9
	s_mov_b32 s1, 0xbf27a4f4
	v_fmac_f32_e32 v13, 0x3ed4b147, v39
	v_mul_f32_e32 v45, 0xbe11bafb, v42
	v_fmac_f32_e32 v7, 0x3f68dda4, v37
	v_add_f32_e32 v3, v6, v3
	v_fma_f32 v6, v38, s1, -v10
	s_mov_b32 s6, 0x3ed4b147
	v_add_f32_e32 v13, v13, v1
	v_mov_b32_e32 v1, v45
	v_mul_f32_e32 v46, 0xbf7d64f0, v44
	v_add_f32_e32 v2, v7, v2
	v_add_f32_e32 v3, v6, v3
	v_fma_f32 v6, v39, s6, -v11
	s_mov_b32 s7, 0xbe11bafb
	v_fmac_f32_e32 v45, 0xbf7d64f0, v12
	v_fmac_f32_e32 v1, 0x3f7d64f0, v12
	v_add_f32_e32 v6, v6, v3
	v_add_f32_e32 v3, v45, v2
	v_fma_f32 v2, v43, s7, -v46
	v_mul_f32_e32 v45, 0xbf4178ce, v14
	v_add_f32_e32 v1, v1, v0
	v_mov_b32_e32 v0, v46
	v_add_f32_e32 v2, v2, v6
	v_mov_b32_e32 v6, v45
	v_mul_f32_e32 v46, 0x3f7d64f0, v15
	v_fmac_f32_e32 v6, 0xbf27a4f4, v32
	v_mov_b32_e32 v7, v46
	v_add_f32_e32 v6, v26, v6
	v_fmac_f32_e32 v7, 0xbe11bafb, v33
	v_mul_f32_e32 v47, 0xbf0a6770, v35
	v_add_f32_e32 v6, v7, v6
	v_mov_b32_e32 v7, v47
	v_fmac_f32_e32 v7, 0x3f575c64, v34
	v_mul_f32_e32 v48, 0xbe903f40, v37
	v_add_f32_e32 v6, v7, v6
	v_mov_b32_e32 v7, v48
	v_fmac_f32_e32 v7, 0xbf75a155, v36
	v_mul_f32_e32 v49, 0xbf4178ce, v18
	v_add_f32_e32 v6, v7, v6
	v_fma_f32 v7, v40, s1, -v49
	v_mul_f32_e32 v50, 0x3f7d64f0, v19
	v_add_f32_e32 v7, v25, v7
	v_fma_f32 v8, v41, s7, -v50
	;; [unrolled: 3-line block ×4, first 2 shown]
	v_mul_f32_e32 v53, 0x3f68dda4, v12
	v_add_f32_e32 v8, v8, v7
	v_mov_b32_e32 v7, v53
	v_fmac_f32_e32 v7, 0x3ed4b147, v42
	v_mul_f32_e32 v54, 0x3f68dda4, v44
	v_add_f32_e32 v7, v7, v6
	v_fma_f32 v6, v43, s6, -v54
	v_mul_f32_e32 v55, 0xbf7d64f0, v14
	v_add_f32_e32 v6, v6, v8
	v_mov_b32_e32 v8, v55
	v_mul_f32_e32 v56, 0x3e903f40, v15
	v_fmac_f32_e32 v8, 0xbe11bafb, v32
	v_mov_b32_e32 v9, v56
	v_add_f32_e32 v8, v26, v8
	v_fmac_f32_e32 v9, 0xbf75a155, v33
	v_mul_f32_e32 v57, 0x3f68dda4, v35
	v_add_f32_e32 v8, v9, v8
	v_mov_b32_e32 v9, v57
	v_fmac_f32_e32 v9, 0x3ed4b147, v34
	v_mul_f32_e32 v58, 0xbf0a6770, v37
	v_add_f32_e32 v8, v9, v8
	v_mov_b32_e32 v9, v58
	v_fmac_f32_e32 v9, 0x3f575c64, v36
	v_mul_f32_e32 v59, 0xbf7d64f0, v18
	v_add_f32_e32 v8, v9, v8
	v_fma_f32 v9, v40, s7, -v59
	v_mul_f32_e32 v60, 0x3e903f40, v19
	v_add_f32_e32 v9, v25, v9
	v_fma_f32 v10, v41, s0, -v60
	;; [unrolled: 3-line block ×4, first 2 shown]
	v_mul_f32_e32 v63, 0xbf4178ce, v12
	v_add_f32_e32 v10, v10, v9
	v_mov_b32_e32 v9, v63
	v_fmac_f32_e32 v9, 0xbf27a4f4, v42
	v_mul_f32_e32 v64, 0xbf4178ce, v44
	v_add_f32_e32 v9, v9, v8
	v_fma_f32 v8, v43, s1, -v64
	v_mul_f32_e32 v65, 0xbf68dda4, v14
	v_add_f32_e32 v8, v8, v10
	v_mov_b32_e32 v10, v65
	v_mul_f32_e32 v66, 0xbf4178ce, v15
	v_fmac_f32_e32 v10, 0x3ed4b147, v32
	v_mov_b32_e32 v11, v66
	v_add_f32_e32 v10, v26, v10
	v_fmac_f32_e32 v11, 0xbf27a4f4, v33
	v_mul_f32_e32 v67, 0x3e903f40, v35
	v_add_f32_e32 v10, v11, v10
	v_mov_b32_e32 v11, v67
	v_fmac_f32_e32 v11, 0xbf75a155, v34
	v_mul_f32_e32 v68, 0x3f7d64f0, v37
	v_add_f32_e32 v10, v11, v10
	v_mov_b32_e32 v11, v68
	v_fmac_f32_e32 v11, 0xbe11bafb, v36
	v_mul_f32_e32 v69, 0xbf68dda4, v18
	v_fmac_f32_e32 v0, 0xbe11bafb, v43
	v_add_f32_e32 v10, v11, v10
	v_fma_f32 v11, v40, s6, -v69
	v_mul_f32_e32 v70, 0xbf4178ce, v19
	v_add_f32_e32 v0, v0, v13
	v_add_f32_e32 v11, v25, v11
	v_fma_f32 v13, v41, s1, -v70
	v_mul_f32_e32 v71, 0x3e903f40, v16
	v_add_f32_e32 v11, v13, v11
	v_fma_f32 v13, v38, s0, -v71
	v_mul_f32_e32 v72, 0x3f7d64f0, v17
	;; [unrolled: 3-line block ×3, first 2 shown]
	v_add_f32_e32 v13, v13, v11
	v_mov_b32_e32 v11, v73
	v_fmac_f32_e32 v11, 0x3f575c64, v42
	v_mul_f32_e32 v74, 0x3f0a6770, v44
	v_add_f32_e32 v11, v11, v10
	v_fma_f32 v10, v43, s8, -v74
	v_mul_f32_e32 v75, 0xbf0a6770, v14
	v_add_f32_e32 v10, v10, v13
	v_mov_b32_e32 v13, v75
	v_mul_f32_e32 v76, 0xbf68dda4, v15
	v_fmac_f32_e32 v13, 0x3f575c64, v32
	v_mov_b32_e32 v14, v76
	v_add_f32_e32 v13, v26, v13
	v_fmac_f32_e32 v14, 0x3ed4b147, v33
	v_mul_f32_e32 v35, 0xbf7d64f0, v35
	v_add_f32_e32 v13, v14, v13
	v_mov_b32_e32 v14, v35
	v_fmac_f32_e32 v14, 0xbe11bafb, v34
	v_mul_f32_e32 v37, 0xbf4178ce, v37
	v_add_f32_e32 v13, v14, v13
	v_mov_b32_e32 v14, v37
	v_fmac_f32_e32 v14, 0xbf27a4f4, v36
	v_mul_f32_e32 v77, 0xbf0a6770, v18
	v_add_f32_e32 v13, v14, v13
	v_fma_f32 v14, v40, s8, -v77
	v_mul_f32_e32 v78, 0xbf68dda4, v19
	v_add_f32_e32 v14, v25, v14
	v_fma_f32 v15, v41, s6, -v78
	v_mul_f32_e32 v79, 0xbf7d64f0, v16
	v_mul_f32_e32 v81, 0xbe903f40, v12
	v_add_f32_e32 v14, v15, v14
	v_fma_f32 v15, v38, s7, -v79
	v_mul_f32_e32 v80, 0xbf4178ce, v17
	v_mov_b32_e32 v12, v81
	v_add_f32_e32 v14, v15, v14
	v_fma_f32 v15, v39, s1, -v80
	v_fmac_f32_e32 v12, 0xbf75a155, v42
	v_mul_f32_e32 v44, 0xbe903f40, v44
	v_add_f32_e32 v14, v15, v14
	v_add_f32_e32 v13, v12, v13
	v_fma_f32 v12, v43, s0, -v44
	v_add_f32_e32 v12, v12, v14
	v_fma_f32 v14, v32, s1, -v45
	v_add_f32_e32 v14, v26, v14
	v_fma_f32 v15, v33, s7, -v46
	v_add_f32_e32 v14, v15, v14
	v_fma_f32 v15, v34, s8, -v47
	v_add_f32_e32 v14, v15, v14
	v_fma_f32 v15, v36, s0, -v48
	v_fmac_f32_e32 v49, 0xbf27a4f4, v40
	v_add_f32_e32 v14, v15, v14
	v_add_f32_e32 v15, v25, v49
	v_fmac_f32_e32 v50, 0xbe11bafb, v41
	v_add_f32_e32 v15, v50, v15
	v_fmac_f32_e32 v51, 0x3f575c64, v38
	;; [unrolled: 2-line block ×3, first 2 shown]
	v_add_f32_e32 v16, v52, v15
	v_fma_f32 v15, v42, s6, -v53
	v_fmac_f32_e32 v54, 0x3ed4b147, v43
	v_add_f32_e32 v15, v15, v14
	v_add_f32_e32 v14, v54, v16
	v_fma_f32 v16, v32, s7, -v55
	v_add_f32_e32 v16, v26, v16
	v_fma_f32 v17, v33, s0, -v56
	;; [unrolled: 2-line block ×4, first 2 shown]
	v_fmac_f32_e32 v59, 0xbe11bafb, v40
	v_add_f32_e32 v16, v17, v16
	v_add_f32_e32 v17, v25, v59
	v_fmac_f32_e32 v60, 0xbf75a155, v41
	v_add_f32_e32 v17, v60, v17
	v_fmac_f32_e32 v61, 0x3ed4b147, v38
	;; [unrolled: 2-line block ×3, first 2 shown]
	v_add_f32_e32 v18, v62, v17
	v_fma_f32 v17, v42, s1, -v63
	v_fmac_f32_e32 v64, 0xbf27a4f4, v43
	v_add_f32_e32 v17, v17, v16
	v_add_f32_e32 v16, v64, v18
	v_fma_f32 v18, v32, s6, -v65
	v_add_f32_e32 v18, v26, v18
	v_fma_f32 v19, v33, s1, -v66
	v_fma_f32 v32, v32, s8, -v75
	v_add_f32_e32 v18, v19, v18
	v_fma_f32 v19, v34, s0, -v67
	v_add_f32_e32 v26, v26, v32
	;; [unrolled: 2-line block ×3, first 2 shown]
	v_fma_f32 v19, v36, s7, -v68
	v_fmac_f32_e32 v69, 0x3ed4b147, v40
	v_fmac_f32_e32 v77, 0x3f575c64, v40
	v_add_f32_e32 v26, v32, v26
	v_fma_f32 v32, v34, s7, -v35
	v_add_f32_e32 v18, v19, v18
	v_add_f32_e32 v19, v25, v69
	v_fmac_f32_e32 v70, 0xbf27a4f4, v41
	v_add_f32_e32 v25, v25, v77
	v_add_f32_e32 v26, v32, v26
	v_fma_f32 v32, v36, s1, -v37
	v_fmac_f32_e32 v78, 0x3ed4b147, v41
	v_add_f32_e32 v19, v70, v19
	v_fmac_f32_e32 v71, 0xbf75a155, v38
	v_add_f32_e32 v26, v32, v26
	v_fma_f32 v32, v42, s0, -v81
	v_add_f32_e32 v25, v78, v25
	v_fmac_f32_e32 v79, 0xbe11bafb, v38
	v_add_f32_e32 v19, v71, v19
	v_fmac_f32_e32 v72, 0xbe11bafb, v39
	;; [unrolled: 2-line block ×3, first 2 shown]
	v_add_f32_e32 v26, v32, v26
	v_mul_u32_u24_e32 v32, 0x50, v24
	v_add_f32_e32 v45, v72, v19
	v_fma_f32 v19, v42, s8, -v73
	v_fmac_f32_e32 v74, 0x3f575c64, v43
	v_add_f32_e32 v25, v80, v25
	v_fmac_f32_e32 v44, 0xbf75a155, v43
	v_add3_u32 v28, v31, v32, v28
	v_add_f32_e32 v19, v19, v18
	v_add_f32_e32 v18, v74, v45
	v_add_f32_e32 v25, v44, v25
	ds_write2_b64 v28, v[4:5], v[12:13] offset1:1
	ds_write2_b64 v28, v[10:11], v[8:9] offset0:2 offset1:3
	ds_write2_b64 v28, v[6:7], v[2:3] offset0:4 offset1:5
	;; [unrolled: 1-line block ×4, first 2 shown]
	ds_write_b64 v28, v[25:26] offset:80
.LBB0_20:
	s_or_b64 exec, exec, s[4:5]
	v_mul_u32_u24_e32 v0, 7, v24
	v_lshlrev_b32_e32 v12, 3, v0
	s_waitcnt lgkmcnt(0)
	s_barrier
	global_load_dwordx4 v[0:3], v12, s[12:13]
	global_load_dwordx4 v[4:7], v12, s[12:13] offset:16
	global_load_dwordx4 v[8:11], v12, s[12:13] offset:32
	global_load_dwordx2 v[25:26], v12, s[12:13] offset:48
	ds_read2_b64 v[12:15], v30 offset0:11 offset1:22
	ds_read2_b64 v[16:19], v30 offset0:33 offset1:44
	ds_read_b64 v[28:29], v29
	ds_read_b64 v[31:32], v30 offset:440
	ds_read2_b32 v[33:34], v30 offset0:132 offset1:133
	ds_read_b64 v[35:36], v30 offset:616
	s_waitcnt vmcnt(0) lgkmcnt(0)
	s_barrier
	v_mul_f32_e32 v37, v1, v13
	v_mul_f32_e32 v1, v1, v12
	;; [unrolled: 1-line block ×14, first 2 shown]
	v_fma_f32 v12, v0, v12, -v37
	v_fmac_f32_e32 v1, v0, v13
	v_fma_f32 v0, v2, v14, -v38
	v_fmac_f32_e32 v3, v2, v15
	v_fma_f32 v2, v4, v16, -v39
	v_fmac_f32_e32 v5, v4, v17
	v_fma_f32 v4, v6, v18, -v40
	v_fmac_f32_e32 v7, v6, v19
	v_fma_f32 v6, v8, v31, -v41
	v_fmac_f32_e32 v9, v8, v32
	v_fma_f32 v8, v10, v33, -v42
	v_fmac_f32_e32 v11, v34, v10
	v_fma_f32 v10, v35, v25, -v43
	v_fmac_f32_e32 v26, v36, v25
	v_sub_f32_e32 v4, v28, v4
	v_sub_f32_e32 v7, v29, v7
	;; [unrolled: 1-line block ×8, first 2 shown]
	v_fma_f32 v15, v29, 2.0, -v7
	v_fma_f32 v3, v3, 2.0, -v11
	;; [unrolled: 1-line block ×6, first 2 shown]
	v_sub_f32_e32 v16, v4, v11
	v_add_f32_e32 v17, v7, v8
	v_fma_f32 v14, v28, 2.0, -v4
	v_fma_f32 v0, v0, 2.0, -v8
	v_sub_f32_e32 v18, v6, v13
	v_add_f32_e32 v19, v9, v10
	v_sub_f32_e32 v10, v15, v3
	v_fma_f32 v11, v4, 2.0, -v16
	v_fma_f32 v13, v7, 2.0, -v17
	v_sub_f32_e32 v3, v12, v2
	v_sub_f32_e32 v2, v1, v5
	;; [unrolled: 1-line block ×3, first 2 shown]
	v_fma_f32 v25, v6, 2.0, -v18
	v_fma_f32 v26, v9, 2.0, -v19
	;; [unrolled: 1-line block ×3, first 2 shown]
	v_mov_b32_e32 v0, v11
	v_mov_b32_e32 v1, v13
	v_fmac_f32_e32 v0, 0xbf3504f3, v25
	v_fmac_f32_e32 v1, 0xbf3504f3, v26
	v_fma_f32 v4, v12, 2.0, -v3
	v_add_f32_e32 v3, v10, v3
	v_fmac_f32_e32 v0, 0xbf3504f3, v26
	v_fmac_f32_e32 v1, 0x3f3504f3, v25
	v_fma_f32 v9, v14, 2.0, -v8
	v_fma_f32 v14, v15, 2.0, -v10
	;; [unrolled: 1-line block ×5, first 2 shown]
	v_mov_b32_e32 v12, v16
	v_mov_b32_e32 v13, v17
	v_sub_f32_e32 v2, v8, v2
	v_sub_f32_e32 v4, v9, v4
	;; [unrolled: 1-line block ×3, first 2 shown]
	v_fmac_f32_e32 v12, 0x3f3504f3, v18
	v_fmac_f32_e32 v13, 0x3f3504f3, v19
	v_fma_f32 v6, v8, 2.0, -v2
	v_fma_f32 v8, v9, 2.0, -v4
	;; [unrolled: 1-line block ×3, first 2 shown]
	v_fmac_f32_e32 v12, 0xbf3504f3, v19
	v_fmac_f32_e32 v13, 0x3f3504f3, v18
	v_fma_f32 v14, v16, 2.0, -v12
	v_fma_f32 v15, v17, 2.0, -v13
	ds_write2_b64 v30, v[8:9], v[10:11] offset1:11
	ds_write2_b64 v30, v[6:7], v[14:15] offset0:22 offset1:33
	ds_write2_b64 v30, v[4:5], v[0:1] offset0:44 offset1:55
	;; [unrolled: 1-line block ×3, first 2 shown]
	s_waitcnt lgkmcnt(0)
	s_barrier
	s_and_saveexec_b64 s[0:1], vcc
	s_cbranch_execz .LBB0_22
; %bb.21:
	v_mul_lo_u32 v0, s3, v22
	v_mul_lo_u32 v1, s2, v23
	v_mad_u64_u32 v[4:5], s[0:1], s2, v22, 0
	v_mov_b32_e32 v7, s11
	v_lshl_add_u32 v6, v24, 3, v27
	v_add3_u32 v5, v5, v1, v0
	v_lshlrev_b64 v[4:5], 3, v[4:5]
	v_mov_b32_e32 v25, 0
	v_add_co_u32_e32 v8, vcc, s10, v4
	v_addc_co_u32_e32 v7, vcc, v7, v5, vcc
	v_lshlrev_b64 v[4:5], 3, v[20:21]
	ds_read2_b64 v[0:3], v6 offset1:11
	v_add_co_u32_e32 v8, vcc, v8, v4
	v_addc_co_u32_e32 v7, vcc, v7, v5, vcc
	v_lshlrev_b64 v[4:5], 3, v[24:25]
	v_add_co_u32_e32 v4, vcc, v8, v4
	v_addc_co_u32_e32 v5, vcc, v7, v5, vcc
	s_waitcnt lgkmcnt(0)
	global_store_dwordx2 v[4:5], v[0:1], off
	v_add_u32_e32 v0, 11, v24
	v_mov_b32_e32 v1, v25
	v_lshlrev_b64 v[0:1], 3, v[0:1]
	v_add_u32_e32 v4, 22, v24
	v_add_co_u32_e32 v0, vcc, v8, v0
	v_addc_co_u32_e32 v1, vcc, v7, v1, vcc
	global_store_dwordx2 v[0:1], v[2:3], off
	v_mov_b32_e32 v5, v25
	ds_read2_b64 v[0:3], v6 offset0:22 offset1:33
	v_lshlrev_b64 v[4:5], 3, v[4:5]
	v_add_co_u32_e32 v4, vcc, v8, v4
	v_addc_co_u32_e32 v5, vcc, v7, v5, vcc
	s_waitcnt lgkmcnt(0)
	global_store_dwordx2 v[4:5], v[0:1], off
	v_add_u32_e32 v0, 33, v24
	v_mov_b32_e32 v1, v25
	v_lshlrev_b64 v[0:1], 3, v[0:1]
	v_add_u32_e32 v4, 44, v24
	v_add_co_u32_e32 v0, vcc, v8, v0
	v_addc_co_u32_e32 v1, vcc, v7, v1, vcc
	global_store_dwordx2 v[0:1], v[2:3], off
	v_mov_b32_e32 v5, v25
	ds_read2_b64 v[0:3], v6 offset0:44 offset1:55
	;; [unrolled: 14-line block ×3, first 2 shown]
	v_lshlrev_b64 v[4:5], 3, v[4:5]
	v_add_u32_e32 v24, 0x4d, v24
	v_add_co_u32_e32 v4, vcc, v8, v4
	v_addc_co_u32_e32 v5, vcc, v7, v5, vcc
	s_waitcnt lgkmcnt(0)
	global_store_dwordx2 v[4:5], v[0:1], off
	v_lshlrev_b64 v[0:1], 3, v[24:25]
	v_add_co_u32_e32 v0, vcc, v8, v0
	v_addc_co_u32_e32 v1, vcc, v7, v1, vcc
	global_store_dwordx2 v[0:1], v[2:3], off
.LBB0_22:
	s_endpgm
	.section	.rodata,"a",@progbits
	.p2align	6, 0x0
	.amdhsa_kernel fft_rtc_fwd_len88_factors_11_8_wgs_121_tpt_11_halfLds_sp_op_CI_CI_unitstride_sbrr_C2R_dirReg
		.amdhsa_group_segment_fixed_size 0
		.amdhsa_private_segment_fixed_size 0
		.amdhsa_kernarg_size 104
		.amdhsa_user_sgpr_count 6
		.amdhsa_user_sgpr_private_segment_buffer 1
		.amdhsa_user_sgpr_dispatch_ptr 0
		.amdhsa_user_sgpr_queue_ptr 0
		.amdhsa_user_sgpr_kernarg_segment_ptr 1
		.amdhsa_user_sgpr_dispatch_id 0
		.amdhsa_user_sgpr_flat_scratch_init 0
		.amdhsa_user_sgpr_private_segment_size 0
		.amdhsa_uses_dynamic_stack 0
		.amdhsa_system_sgpr_private_segment_wavefront_offset 0
		.amdhsa_system_sgpr_workgroup_id_x 1
		.amdhsa_system_sgpr_workgroup_id_y 0
		.amdhsa_system_sgpr_workgroup_id_z 0
		.amdhsa_system_sgpr_workgroup_info 0
		.amdhsa_system_vgpr_workitem_id 0
		.amdhsa_next_free_vgpr 82
		.amdhsa_next_free_sgpr 28
		.amdhsa_reserve_vcc 1
		.amdhsa_reserve_flat_scratch 0
		.amdhsa_float_round_mode_32 0
		.amdhsa_float_round_mode_16_64 0
		.amdhsa_float_denorm_mode_32 3
		.amdhsa_float_denorm_mode_16_64 3
		.amdhsa_dx10_clamp 1
		.amdhsa_ieee_mode 1
		.amdhsa_fp16_overflow 0
		.amdhsa_exception_fp_ieee_invalid_op 0
		.amdhsa_exception_fp_denorm_src 0
		.amdhsa_exception_fp_ieee_div_zero 0
		.amdhsa_exception_fp_ieee_overflow 0
		.amdhsa_exception_fp_ieee_underflow 0
		.amdhsa_exception_fp_ieee_inexact 0
		.amdhsa_exception_int_div_zero 0
	.end_amdhsa_kernel
	.text
.Lfunc_end0:
	.size	fft_rtc_fwd_len88_factors_11_8_wgs_121_tpt_11_halfLds_sp_op_CI_CI_unitstride_sbrr_C2R_dirReg, .Lfunc_end0-fft_rtc_fwd_len88_factors_11_8_wgs_121_tpt_11_halfLds_sp_op_CI_CI_unitstride_sbrr_C2R_dirReg
                                        ; -- End function
	.section	.AMDGPU.csdata,"",@progbits
; Kernel info:
; codeLenInByte = 5328
; NumSgprs: 32
; NumVgprs: 82
; ScratchSize: 0
; MemoryBound: 0
; FloatMode: 240
; IeeeMode: 1
; LDSByteSize: 0 bytes/workgroup (compile time only)
; SGPRBlocks: 3
; VGPRBlocks: 20
; NumSGPRsForWavesPerEU: 32
; NumVGPRsForWavesPerEU: 82
; Occupancy: 3
; WaveLimiterHint : 1
; COMPUTE_PGM_RSRC2:SCRATCH_EN: 0
; COMPUTE_PGM_RSRC2:USER_SGPR: 6
; COMPUTE_PGM_RSRC2:TRAP_HANDLER: 0
; COMPUTE_PGM_RSRC2:TGID_X_EN: 1
; COMPUTE_PGM_RSRC2:TGID_Y_EN: 0
; COMPUTE_PGM_RSRC2:TGID_Z_EN: 0
; COMPUTE_PGM_RSRC2:TIDIG_COMP_CNT: 0
	.type	__hip_cuid_9cfff60da452944d,@object ; @__hip_cuid_9cfff60da452944d
	.section	.bss,"aw",@nobits
	.globl	__hip_cuid_9cfff60da452944d
__hip_cuid_9cfff60da452944d:
	.byte	0                               ; 0x0
	.size	__hip_cuid_9cfff60da452944d, 1

	.ident	"AMD clang version 19.0.0git (https://github.com/RadeonOpenCompute/llvm-project roc-6.4.0 25133 c7fe45cf4b819c5991fe208aaa96edf142730f1d)"
	.section	".note.GNU-stack","",@progbits
	.addrsig
	.addrsig_sym __hip_cuid_9cfff60da452944d
	.amdgpu_metadata
---
amdhsa.kernels:
  - .args:
      - .actual_access:  read_only
        .address_space:  global
        .offset:         0
        .size:           8
        .value_kind:     global_buffer
      - .offset:         8
        .size:           8
        .value_kind:     by_value
      - .actual_access:  read_only
        .address_space:  global
        .offset:         16
        .size:           8
        .value_kind:     global_buffer
      - .actual_access:  read_only
        .address_space:  global
        .offset:         24
        .size:           8
        .value_kind:     global_buffer
      - .actual_access:  read_only
        .address_space:  global
        .offset:         32
        .size:           8
        .value_kind:     global_buffer
      - .offset:         40
        .size:           8
        .value_kind:     by_value
      - .actual_access:  read_only
        .address_space:  global
        .offset:         48
        .size:           8
        .value_kind:     global_buffer
      - .actual_access:  read_only
        .address_space:  global
        .offset:         56
        .size:           8
        .value_kind:     global_buffer
      - .offset:         64
        .size:           4
        .value_kind:     by_value
      - .actual_access:  read_only
        .address_space:  global
        .offset:         72
        .size:           8
        .value_kind:     global_buffer
      - .actual_access:  read_only
        .address_space:  global
        .offset:         80
        .size:           8
        .value_kind:     global_buffer
      - .actual_access:  read_only
        .address_space:  global
        .offset:         88
        .size:           8
        .value_kind:     global_buffer
      - .actual_access:  write_only
        .address_space:  global
        .offset:         96
        .size:           8
        .value_kind:     global_buffer
    .group_segment_fixed_size: 0
    .kernarg_segment_align: 8
    .kernarg_segment_size: 104
    .language:       OpenCL C
    .language_version:
      - 2
      - 0
    .max_flat_workgroup_size: 121
    .name:           fft_rtc_fwd_len88_factors_11_8_wgs_121_tpt_11_halfLds_sp_op_CI_CI_unitstride_sbrr_C2R_dirReg
    .private_segment_fixed_size: 0
    .sgpr_count:     32
    .sgpr_spill_count: 0
    .symbol:         fft_rtc_fwd_len88_factors_11_8_wgs_121_tpt_11_halfLds_sp_op_CI_CI_unitstride_sbrr_C2R_dirReg.kd
    .uniform_work_group_size: 1
    .uses_dynamic_stack: false
    .vgpr_count:     82
    .vgpr_spill_count: 0
    .wavefront_size: 64
amdhsa.target:   amdgcn-amd-amdhsa--gfx906
amdhsa.version:
  - 1
  - 2
...

	.end_amdgpu_metadata
